;; amdgpu-corpus repo=ROCm/rocFFT kind=compiled arch=gfx906 opt=O3
	.text
	.amdgcn_target "amdgcn-amd-amdhsa--gfx906"
	.amdhsa_code_object_version 6
	.protected	fft_rtc_back_len384_factors_6_4_4_4_wgs_128_tpt_32_halfLds_dp_op_CI_CI_unitstride_sbrr_dirReg ; -- Begin function fft_rtc_back_len384_factors_6_4_4_4_wgs_128_tpt_32_halfLds_dp_op_CI_CI_unitstride_sbrr_dirReg
	.globl	fft_rtc_back_len384_factors_6_4_4_4_wgs_128_tpt_32_halfLds_dp_op_CI_CI_unitstride_sbrr_dirReg
	.p2align	8
	.type	fft_rtc_back_len384_factors_6_4_4_4_wgs_128_tpt_32_halfLds_dp_op_CI_CI_unitstride_sbrr_dirReg,@function
fft_rtc_back_len384_factors_6_4_4_4_wgs_128_tpt_32_halfLds_dp_op_CI_CI_unitstride_sbrr_dirReg: ; @fft_rtc_back_len384_factors_6_4_4_4_wgs_128_tpt_32_halfLds_dp_op_CI_CI_unitstride_sbrr_dirReg
; %bb.0:
	s_load_dwordx4 s[8:11], s[4:5], 0x58
	s_load_dwordx4 s[12:15], s[4:5], 0x0
	;; [unrolled: 1-line block ×3, first 2 shown]
	v_lshrrev_b32_e32 v56, 5, v0
	v_mov_b32_e32 v3, 0
	v_mov_b32_e32 v1, 0
	s_waitcnt lgkmcnt(0)
	v_cmp_lt_u64_e64 s[0:1], s[14:15], 2
	v_lshl_or_b32 v5, s6, 2, v56
	v_mov_b32_e32 v6, v3
	s_and_b64 vcc, exec, s[0:1]
	v_mov_b32_e32 v2, 0
	s_cbranch_vccnz .LBB0_8
; %bb.1:
	s_load_dwordx2 s[0:1], s[4:5], 0x10
	s_add_u32 s2, s18, 8
	s_addc_u32 s3, s19, 0
	s_add_u32 s6, s16, 8
	v_mov_b32_e32 v1, 0
	s_addc_u32 s7, s17, 0
	v_mov_b32_e32 v2, 0
	s_waitcnt lgkmcnt(0)
	s_add_u32 s20, s0, 8
	v_mov_b32_e32 v50, v2
	s_addc_u32 s21, s1, 0
	s_mov_b64 s[22:23], 1
	v_mov_b32_e32 v49, v1
.LBB0_2:                                ; =>This Inner Loop Header: Depth=1
	s_load_dwordx2 s[24:25], s[20:21], 0x0
                                        ; implicit-def: $vgpr51_vgpr52
	s_waitcnt lgkmcnt(0)
	v_or_b32_e32 v4, s25, v6
	v_cmp_ne_u64_e32 vcc, 0, v[3:4]
	s_and_saveexec_b64 s[0:1], vcc
	s_xor_b64 s[26:27], exec, s[0:1]
	s_cbranch_execz .LBB0_4
; %bb.3:                                ;   in Loop: Header=BB0_2 Depth=1
	v_cvt_f32_u32_e32 v4, s24
	v_cvt_f32_u32_e32 v7, s25
	s_sub_u32 s0, 0, s24
	s_subb_u32 s1, 0, s25
	v_mac_f32_e32 v4, 0x4f800000, v7
	v_rcp_f32_e32 v4, v4
	v_mul_f32_e32 v4, 0x5f7ffffc, v4
	v_mul_f32_e32 v7, 0x2f800000, v4
	v_trunc_f32_e32 v7, v7
	v_mac_f32_e32 v4, 0xcf800000, v7
	v_cvt_u32_f32_e32 v7, v7
	v_cvt_u32_f32_e32 v4, v4
	v_mul_lo_u32 v8, s0, v7
	v_mul_hi_u32 v9, s0, v4
	v_mul_lo_u32 v11, s1, v4
	v_mul_lo_u32 v10, s0, v4
	v_add_u32_e32 v8, v9, v8
	v_add_u32_e32 v8, v8, v11
	v_mul_hi_u32 v9, v4, v10
	v_mul_lo_u32 v11, v4, v8
	v_mul_hi_u32 v13, v4, v8
	v_mul_hi_u32 v12, v7, v10
	v_mul_lo_u32 v10, v7, v10
	v_mul_hi_u32 v14, v7, v8
	v_add_co_u32_e32 v9, vcc, v9, v11
	v_addc_co_u32_e32 v11, vcc, 0, v13, vcc
	v_mul_lo_u32 v8, v7, v8
	v_add_co_u32_e32 v9, vcc, v9, v10
	v_addc_co_u32_e32 v9, vcc, v11, v12, vcc
	v_addc_co_u32_e32 v10, vcc, 0, v14, vcc
	v_add_co_u32_e32 v8, vcc, v9, v8
	v_addc_co_u32_e32 v9, vcc, 0, v10, vcc
	v_add_co_u32_e32 v4, vcc, v4, v8
	v_addc_co_u32_e32 v7, vcc, v7, v9, vcc
	v_mul_lo_u32 v8, s0, v7
	v_mul_hi_u32 v9, s0, v4
	v_mul_lo_u32 v10, s1, v4
	v_mul_lo_u32 v11, s0, v4
	v_add_u32_e32 v8, v9, v8
	v_add_u32_e32 v8, v8, v10
	v_mul_lo_u32 v12, v4, v8
	v_mul_hi_u32 v13, v4, v11
	v_mul_hi_u32 v14, v4, v8
	v_mul_hi_u32 v10, v7, v11
	v_mul_lo_u32 v11, v7, v11
	v_mul_hi_u32 v9, v7, v8
	v_add_co_u32_e32 v12, vcc, v13, v12
	v_addc_co_u32_e32 v13, vcc, 0, v14, vcc
	v_mul_lo_u32 v8, v7, v8
	v_add_co_u32_e32 v11, vcc, v12, v11
	v_addc_co_u32_e32 v10, vcc, v13, v10, vcc
	v_addc_co_u32_e32 v9, vcc, 0, v9, vcc
	v_add_co_u32_e32 v8, vcc, v10, v8
	v_addc_co_u32_e32 v9, vcc, 0, v9, vcc
	v_add_co_u32_e32 v4, vcc, v4, v8
	v_addc_co_u32_e32 v9, vcc, v7, v9, vcc
	v_mad_u64_u32 v[7:8], s[0:1], v5, v9, 0
	v_mul_hi_u32 v10, v5, v4
	v_add_co_u32_e32 v11, vcc, v10, v7
	v_addc_co_u32_e32 v12, vcc, 0, v8, vcc
	v_mad_u64_u32 v[7:8], s[0:1], v6, v4, 0
	v_mad_u64_u32 v[9:10], s[0:1], v6, v9, 0
	v_add_co_u32_e32 v4, vcc, v11, v7
	v_addc_co_u32_e32 v4, vcc, v12, v8, vcc
	v_addc_co_u32_e32 v7, vcc, 0, v10, vcc
	v_add_co_u32_e32 v4, vcc, v4, v9
	v_addc_co_u32_e32 v9, vcc, 0, v7, vcc
	v_mul_lo_u32 v10, s25, v4
	v_mul_lo_u32 v11, s24, v9
	v_mad_u64_u32 v[7:8], s[0:1], s24, v4, 0
	v_add3_u32 v8, v8, v11, v10
	v_sub_u32_e32 v10, v6, v8
	v_mov_b32_e32 v11, s25
	v_sub_co_u32_e32 v7, vcc, v5, v7
	v_subb_co_u32_e64 v10, s[0:1], v10, v11, vcc
	v_subrev_co_u32_e64 v11, s[0:1], s24, v7
	v_subbrev_co_u32_e64 v10, s[0:1], 0, v10, s[0:1]
	v_cmp_le_u32_e64 s[0:1], s25, v10
	v_cndmask_b32_e64 v12, 0, -1, s[0:1]
	v_cmp_le_u32_e64 s[0:1], s24, v11
	v_cndmask_b32_e64 v11, 0, -1, s[0:1]
	v_cmp_eq_u32_e64 s[0:1], s25, v10
	v_cndmask_b32_e64 v10, v12, v11, s[0:1]
	v_add_co_u32_e64 v11, s[0:1], 2, v4
	v_addc_co_u32_e64 v12, s[0:1], 0, v9, s[0:1]
	v_add_co_u32_e64 v13, s[0:1], 1, v4
	v_addc_co_u32_e64 v14, s[0:1], 0, v9, s[0:1]
	v_subb_co_u32_e32 v8, vcc, v6, v8, vcc
	v_cmp_ne_u32_e64 s[0:1], 0, v10
	v_cmp_le_u32_e32 vcc, s25, v8
	v_cndmask_b32_e64 v10, v14, v12, s[0:1]
	v_cndmask_b32_e64 v12, 0, -1, vcc
	v_cmp_le_u32_e32 vcc, s24, v7
	v_cndmask_b32_e64 v7, 0, -1, vcc
	v_cmp_eq_u32_e32 vcc, s25, v8
	v_cndmask_b32_e32 v7, v12, v7, vcc
	v_cmp_ne_u32_e32 vcc, 0, v7
	v_cndmask_b32_e64 v7, v13, v11, s[0:1]
	v_cndmask_b32_e32 v52, v9, v10, vcc
	v_cndmask_b32_e32 v51, v4, v7, vcc
.LBB0_4:                                ;   in Loop: Header=BB0_2 Depth=1
	s_andn2_saveexec_b64 s[0:1], s[26:27]
	s_cbranch_execz .LBB0_6
; %bb.5:                                ;   in Loop: Header=BB0_2 Depth=1
	v_cvt_f32_u32_e32 v4, s24
	s_sub_i32 s26, 0, s24
	v_mov_b32_e32 v52, v3
	v_rcp_iflag_f32_e32 v4, v4
	v_mul_f32_e32 v4, 0x4f7ffffe, v4
	v_cvt_u32_f32_e32 v4, v4
	v_mul_lo_u32 v7, s26, v4
	v_mul_hi_u32 v7, v4, v7
	v_add_u32_e32 v4, v4, v7
	v_mul_hi_u32 v4, v5, v4
	v_mul_lo_u32 v7, v4, s24
	v_add_u32_e32 v8, 1, v4
	v_sub_u32_e32 v7, v5, v7
	v_subrev_u32_e32 v9, s24, v7
	v_cmp_le_u32_e32 vcc, s24, v7
	v_cndmask_b32_e32 v7, v7, v9, vcc
	v_cndmask_b32_e32 v4, v4, v8, vcc
	v_add_u32_e32 v8, 1, v4
	v_cmp_le_u32_e32 vcc, s24, v7
	v_cndmask_b32_e32 v51, v4, v8, vcc
.LBB0_6:                                ;   in Loop: Header=BB0_2 Depth=1
	s_or_b64 exec, exec, s[0:1]
	v_mul_lo_u32 v4, v52, s24
	v_mul_lo_u32 v9, v51, s25
	v_mad_u64_u32 v[7:8], s[0:1], v51, s24, 0
	s_load_dwordx2 s[0:1], s[6:7], 0x0
	s_load_dwordx2 s[24:25], s[2:3], 0x0
	v_add3_u32 v4, v8, v9, v4
	v_sub_co_u32_e32 v5, vcc, v5, v7
	v_subb_co_u32_e32 v4, vcc, v6, v4, vcc
	s_waitcnt lgkmcnt(0)
	v_mul_lo_u32 v6, s0, v4
	v_mul_lo_u32 v7, s1, v5
	v_mad_u64_u32 v[1:2], s[0:1], s0, v5, v[1:2]
	v_mul_lo_u32 v4, s24, v4
	v_mul_lo_u32 v8, s25, v5
	v_mad_u64_u32 v[49:50], s[0:1], s24, v5, v[49:50]
	s_add_u32 s22, s22, 1
	s_addc_u32 s23, s23, 0
	s_add_u32 s2, s2, 8
	v_add3_u32 v50, v8, v50, v4
	s_addc_u32 s3, s3, 0
	v_mov_b32_e32 v4, s14
	s_add_u32 s6, s6, 8
	v_mov_b32_e32 v5, s15
	s_addc_u32 s7, s7, 0
	v_cmp_ge_u64_e32 vcc, s[22:23], v[4:5]
	s_add_u32 s20, s20, 8
	v_add3_u32 v2, v7, v2, v6
	s_addc_u32 s21, s21, 0
	s_cbranch_vccnz .LBB0_9
; %bb.7:                                ;   in Loop: Header=BB0_2 Depth=1
	v_mov_b32_e32 v5, v51
	v_mov_b32_e32 v6, v52
	s_branch .LBB0_2
.LBB0_8:
	v_mov_b32_e32 v50, v2
	v_mov_b32_e32 v52, v6
	;; [unrolled: 1-line block ×4, first 2 shown]
.LBB0_9:
	s_load_dwordx2 s[0:1], s[4:5], 0x28
	s_lshl_b64 s[6:7], s[14:15], 3
	s_add_u32 s2, s18, s6
	s_addc_u32 s3, s19, s7
	v_and_b32_e32 v53, 31, v0
	s_waitcnt lgkmcnt(0)
	v_cmp_gt_u64_e32 vcc, s[0:1], v[51:52]
	v_cmp_le_u64_e64 s[0:1], s[0:1], v[51:52]
                                        ; implicit-def: $vgpr54
                                        ; implicit-def: $vgpr55
	s_and_saveexec_b64 s[4:5], s[0:1]
	s_xor_b64 s[0:1], exec, s[4:5]
; %bb.10:
	v_and_b32_e32 v53, 31, v0
	v_or_b32_e32 v54, 32, v53
	v_or_b32_e32 v55, 64, v53
                                        ; implicit-def: $vgpr1_vgpr2
                                        ; implicit-def: $vgpr0
; %bb.11:
	s_or_saveexec_b64 s[4:5], s[0:1]
                                        ; implicit-def: $vgpr39_vgpr40
                                        ; implicit-def: $vgpr47_vgpr48
                                        ; implicit-def: $vgpr27_vgpr28
                                        ; implicit-def: $vgpr3_vgpr4
                                        ; implicit-def: $vgpr15_vgpr16
                                        ; implicit-def: $vgpr19_vgpr20
                                        ; implicit-def: $vgpr7_vgpr8
                                        ; implicit-def: $vgpr23_vgpr24
                                        ; implicit-def: $vgpr11_vgpr12
                                        ; implicit-def: $vgpr31_vgpr32
                                        ; implicit-def: $vgpr43_vgpr44
                                        ; implicit-def: $vgpr35_vgpr36
	s_xor_b64 exec, exec, s[4:5]
	s_cbranch_execz .LBB0_13
; %bb.12:
	s_add_u32 s0, s16, s6
	s_addc_u32 s1, s17, s7
	s_load_dwordx2 s[0:1], s[0:1], 0x0
	v_mov_b32_e32 v7, s9
	v_lshlrev_b64 v[1:2], 4, v[1:2]
	v_lshlrev_b32_e32 v11, 4, v53
	s_waitcnt lgkmcnt(0)
	v_mul_lo_u32 v5, s1, v51
	v_mul_lo_u32 v6, s0, v52
	v_mad_u64_u32 v[3:4], s[0:1], s0, v51, 0
	v_add3_u32 v4, v4, v6, v5
	v_lshlrev_b64 v[3:4], 4, v[3:4]
	v_add_co_u32_e64 v3, s[0:1], s8, v3
	v_addc_co_u32_e64 v4, s[0:1], v7, v4, s[0:1]
	v_add_co_u32_e64 v9, s[0:1], v3, v1
	v_addc_co_u32_e64 v10, s[0:1], v4, v2, s[0:1]
	;; [unrolled: 2-line block ×3, first 2 shown]
	v_or_b32_e32 v1, 0x1000, v11
	v_add_co_u32_e64 v5, s[0:1], v9, v1
	v_addc_co_u32_e64 v6, s[0:1], 0, v10, s[0:1]
	v_or_b32_e32 v1, 0x1400, v11
	v_add_co_u32_e64 v7, s[0:1], v9, v1
	v_addc_co_u32_e64 v8, s[0:1], 0, v10, s[0:1]
	global_load_dwordx4 v[29:32], v[5:6], off
	global_load_dwordx4 v[25:28], v[7:8], off
	;; [unrolled: 1-line block ×3, first 2 shown]
	global_load_dwordx4 v[1:4], v[54:55], off offset:512
	v_or_b32_e32 v5, 0x1200, v11
	v_add_co_u32_e64 v57, s[0:1], v9, v5
	v_mov_b32_e32 v5, 0x1600
	v_addc_co_u32_e64 v58, s[0:1], 0, v10, s[0:1]
	v_lshl_or_b32 v0, v0, 4, v5
	v_add_co_u32_e64 v59, s[0:1], v9, v0
	v_addc_co_u32_e64 v60, s[0:1], 0, v10, s[0:1]
	global_load_dwordx4 v[37:40], v[54:55], off offset:1024
	global_load_dwordx4 v[9:12], v[54:55], off offset:1536
	;; [unrolled: 1-line block ×6, first 2 shown]
	global_load_dwordx4 v[17:20], v[57:58], off
	global_load_dwordx4 v[5:8], v[59:60], off
	v_or_b32_e32 v55, 64, v53
	v_or_b32_e32 v54, 32, v53
.LBB0_13:
	s_or_b64 exec, exec, s[4:5]
	s_waitcnt vmcnt(3)
	v_add_f64 v[57:58], v[27:28], v[43:44]
	v_add_f64 v[67:68], v[25:26], v[41:42]
	v_add_f64 v[69:70], v[41:42], -v[25:26]
	s_mov_b32 s0, 0xe8584caa
	s_mov_b32 s1, 0xbfebb67a
	;; [unrolled: 1-line block ×4, first 2 shown]
	v_add_f64 v[59:60], v[45:46], v[29:30]
	v_fma_f64 v[57:58], v[57:58], -0.5, v[39:40]
	v_add_f64 v[61:62], v[47:48], v[31:32]
	v_add_f64 v[71:72], v[43:44], -v[27:28]
	v_fma_f64 v[67:68], v[67:68], -0.5, v[37:38]
	v_add_f64 v[63:64], v[45:46], v[33:34]
	v_add_f64 v[65:66], v[47:48], v[35:36]
	v_add_f64 v[47:48], v[47:48], -v[31:32]
	v_add_f64 v[45:46], v[45:46], -v[29:30]
	v_fma_f64 v[73:74], v[69:70], s[4:5], v[57:58]
	v_add_f64 v[37:38], v[37:38], v[41:42]
	v_add_f64 v[39:40], v[39:40], v[43:44]
	v_fma_f64 v[41:42], v[69:70], s[0:1], v[57:58]
	v_fma_f64 v[33:34], v[59:60], -0.5, v[33:34]
	v_fma_f64 v[35:36], v[61:62], -0.5, v[35:36]
	v_fma_f64 v[43:44], v[71:72], s[0:1], v[67:68]
	v_add_f64 v[29:30], v[29:30], v[63:64]
	v_mul_f64 v[57:58], v[73:74], s[0:1]
	v_add_f64 v[59:60], v[31:32], v[65:66]
	v_fma_f64 v[61:62], v[71:72], s[4:5], v[67:68]
	v_mul_f64 v[31:32], v[41:42], s[0:1]
	v_add_f64 v[37:38], v[25:26], v[37:38]
	v_add_f64 v[63:64], v[27:28], v[39:40]
	v_fma_f64 v[39:40], v[47:48], s[0:1], v[33:34]
	v_mul_f64 v[27:28], v[43:44], s[4:5]
	v_fma_f64 v[43:44], v[43:44], 0.5, v[57:58]
	v_fma_f64 v[47:48], v[47:48], s[4:5], v[33:34]
	v_mul_f64 v[33:34], v[41:42], -0.5
	v_fma_f64 v[57:58], v[45:46], s[4:5], v[35:36]
	v_fma_f64 v[67:68], v[45:46], s[0:1], v[35:36]
	s_waitcnt vmcnt(0)
	v_add_f64 v[45:46], v[15:16], v[7:8]
	v_fma_f64 v[41:42], v[61:62], -0.5, v[31:32]
	v_add_f64 v[25:26], v[37:38], v[29:30]
	v_add_f64 v[31:32], v[29:30], -v[37:38]
	v_fma_f64 v[65:66], v[73:74], 0.5, v[27:28]
	v_add_f64 v[27:28], v[39:40], v[43:44]
	v_fma_f64 v[61:62], v[61:62], s[4:5], v[33:34]
	v_add_f64 v[33:34], v[39:40], -v[43:44]
	v_add_f64 v[37:38], v[63:64], v[59:60]
	v_add_f64 v[43:44], v[59:60], -v[63:64]
	v_add_f64 v[59:60], v[13:14], v[5:6]
	v_fma_f64 v[63:64], v[45:46], -0.5, v[11:12]
	v_add_f64 v[69:70], v[13:14], -v[5:6]
	v_add_f64 v[29:30], v[47:48], v[41:42]
	v_add_f64 v[35:36], v[47:48], -v[41:42]
	v_add_f64 v[39:40], v[57:58], v[65:66]
	v_add_f64 v[41:42], v[67:68], v[61:62]
	v_add_f64 v[45:46], v[57:58], -v[65:66]
	v_add_f64 v[47:48], v[67:68], -v[61:62]
	v_add_f64 v[65:66], v[17:18], v[21:22]
	v_fma_f64 v[59:60], v[59:60], -0.5, v[9:10]
	v_add_f64 v[67:68], v[15:16], -v[7:8]
	v_fma_f64 v[71:72], v[69:70], s[4:5], v[63:64]
	v_add_f64 v[9:10], v[13:14], v[9:10]
	v_fma_f64 v[13:14], v[69:70], s[0:1], v[63:64]
	v_add_f64 v[57:58], v[1:2], v[21:22]
	v_add_f64 v[61:62], v[3:4], v[23:24]
	;; [unrolled: 1-line block ×3, first 2 shown]
	v_fma_f64 v[0:1], v[65:66], -0.5, v[1:2]
	v_fma_f64 v[63:64], v[67:68], s[0:1], v[59:60]
	v_mul_f64 v[65:66], v[71:72], s[0:1]
	v_add_f64 v[11:12], v[15:16], v[11:12]
	v_add_f64 v[23:24], v[23:24], -v[19:20]
	v_add_f64 v[5:6], v[5:6], v[9:10]
	v_fma_f64 v[9:10], v[67:68], s[4:5], v[59:60]
	v_mul_f64 v[15:16], v[13:14], s[0:1]
	v_add_f64 v[21:22], v[21:22], -v[17:18]
	v_add_f64 v[19:20], v[19:20], v[61:62]
	v_fma_f64 v[59:60], v[63:64], 0.5, v[65:66]
	v_mul_f64 v[61:62], v[63:64], s[4:5]
	v_fma_f64 v[63:64], v[73:74], -0.5, v[3:4]
	v_add_f64 v[65:66], v[7:8], v[11:12]
	v_mul_f64 v[7:8], v[13:14], -0.5
	v_add_f64 v[17:18], v[17:18], v[57:58]
	v_fma_f64 v[57:58], v[23:24], s[0:1], v[0:1]
	v_fma_f64 v[11:12], v[23:24], s[4:5], v[0:1]
	v_fma_f64 v[13:14], v[9:10], -0.5, v[15:16]
	v_fma_f64 v[23:24], v[71:72], 0.5, v[61:62]
	v_fma_f64 v[61:62], v[21:22], s[4:5], v[63:64]
	v_fma_f64 v[63:64], v[21:22], s[0:1], v[63:64]
	;; [unrolled: 1-line block ×3, first 2 shown]
	v_add_f64 v[1:2], v[17:18], v[5:6]
	v_add_f64 v[3:4], v[57:58], v[59:60]
	v_add_f64 v[7:8], v[17:18], -v[5:6]
	v_add_f64 v[5:6], v[11:12], v[13:14]
	v_add_f64 v[9:10], v[57:58], -v[59:60]
	v_add_f64 v[11:12], v[11:12], -v[13:14]
	v_mul_u32_u24_e32 v0, 0x180, v56
	v_mul_u32_u24_e32 v56, 6, v53
	v_lshl_add_u32 v0, v0, 3, 0
	v_add_f64 v[13:14], v[19:20], v[65:66]
	v_add_f64 v[15:16], v[61:62], v[23:24]
	;; [unrolled: 1-line block ×3, first 2 shown]
	v_add_f64 v[21:22], v[61:62], -v[23:24]
	v_add_f64 v[23:24], v[63:64], -v[67:68]
	v_lshl_add_u32 v68, v56, 3, v0
	v_add_f64 v[19:20], v[19:20], -v[65:66]
	s_load_dwordx2 s[2:3], s[2:3], 0x0
	ds_write_b128 v68, v[25:28]
	ds_write_b128 v68, v[29:32] offset:16
	ds_write_b128 v68, v[33:36] offset:32
	v_mul_i32_i24_e32 v25, 6, v54
	v_lshl_add_u32 v25, v25, 3, v0
	s_movk_i32 s0, 0xffd8
	v_mad_i32_i24 v30, v53, s0, v68
	v_mad_i32_i24 v26, v54, s0, v25
	s_movk_i32 s0, 0xab
	ds_write_b128 v25, v[1:4]
	ds_write_b128 v25, v[5:8] offset:16
	ds_write_b128 v25, v[9:12] offset:32
	v_lshl_add_u32 v29, v53, 3, v0
	v_lshl_add_u32 v31, v55, 3, v0
	v_mul_lo_u16_sdwa v1, v53, s0 dst_sel:DWORD dst_unused:UNUSED_PAD src0_sel:BYTE_0 src1_sel:DWORD
	s_waitcnt lgkmcnt(0)
	s_barrier
	ds_read_b64 v[60:61], v29
	ds_read2_b64 v[2:5], v30 offset0:96 offset1:128
	ds_read2_b64 v[6:9], v30 offset0:160 offset1:192
	v_add_u32_e32 v27, 0x800, v30
	v_add_u32_e32 v28, 0x400, v30
	ds_read_b64 v[62:63], v31
	ds_read_b64 v[64:65], v26
	ds_read_b64 v[66:67], v30 offset:2816
	ds_read2_b64 v[32:35], v27 offset0:32 offset1:64
	ds_read2_b64 v[56:59], v28 offset0:96 offset1:128
	s_waitcnt lgkmcnt(0)
	s_barrier
	ds_write_b128 v68, v[37:40]
	ds_write_b128 v68, v[41:44] offset:16
	ds_write_b128 v68, v[45:48] offset:32
	ds_write_b128 v25, v[13:16]
	ds_write_b128 v25, v[17:20] offset:16
	ds_write_b128 v25, v[21:24] offset:32
	v_lshrrev_b16_e32 v48, 10, v1
	v_mul_lo_u16_e32 v1, 6, v48
	v_sub_u16_e32 v76, v53, v1
	v_mul_lo_u16_e32 v1, 3, v76
	v_mov_b32_e32 v10, 4
	v_lshlrev_b32_sdwa v40, v10, v1 dst_sel:DWORD dst_unused:UNUSED_PAD src0_sel:DWORD src1_sel:BYTE_0
	s_waitcnt lgkmcnt(0)
	s_barrier
	global_load_dwordx4 v[10:13], v40, s[12:13]
	v_mul_lo_u16_sdwa v77, v54, s0 dst_sel:DWORD dst_unused:UNUSED_PAD src0_sel:BYTE_0 src1_sel:DWORD
	v_lshrrev_b16_e32 v78, 10, v77
	v_mul_lo_u16_e32 v1, 6, v78
	v_sub_u16_e32 v79, v54, v1
	v_mov_b32_e32 v1, 3
	v_mul_u32_u24_sdwa v14, v79, v1 dst_sel:DWORD dst_unused:UNUSED_PAD src0_sel:BYTE_0 src1_sel:DWORD
	v_lshlrev_b32_e32 v74, 4, v14
	global_load_dwordx4 v[14:17], v74, s[12:13]
	global_load_dwordx4 v[18:21], v40, s[12:13] offset:32
	global_load_dwordx4 v[22:25], v74, s[12:13] offset:32
	ds_read2_b64 v[36:39], v30 offset0:96 offset1:128
	global_load_dwordx4 v[40:43], v40, s[12:13] offset:16
	v_mul_lo_u16_sdwa v80, v55, s0 dst_sel:DWORD dst_unused:UNUSED_PAD src0_sel:BYTE_0 src1_sel:DWORD
	v_lshrrev_b16_e32 v81, 10, v80
	v_mul_lo_u16_e32 v44, 6, v81
	v_sub_u16_e32 v82, v55, v44
	v_mul_u32_u24_sdwa v44, v82, v1 dst_sel:DWORD dst_unused:UNUSED_PAD src0_sel:BYTE_0 src1_sel:DWORD
	v_lshlrev_b32_e32 v83, 4, v44
	global_load_dwordx4 v[44:47], v83, s[12:13]
	v_cmp_gt_u32_e64 s[0:1], 24, v53
	v_lshrrev_b16_e32 v80, 12, v80
	s_waitcnt vmcnt(5) lgkmcnt(0)
	v_mul_f64 v[68:69], v[36:37], v[12:13]
	v_mul_f64 v[12:13], v[2:3], v[12:13]
	s_waitcnt vmcnt(4)
	v_mul_f64 v[70:71], v[38:39], v[16:17]
	v_fma_f64 v[68:69], v[2:3], v[10:11], v[68:69]
	v_fma_f64 v[36:37], v[36:37], v[10:11], -v[12:13]
	v_mul_f64 v[10:11], v[4:5], v[16:17]
	v_fma_f64 v[70:71], v[4:5], v[14:15], v[70:71]
	ds_read2_b64 v[2:5], v27 offset0:32 offset1:64
	v_fma_f64 v[38:39], v[38:39], v[14:15], -v[10:11]
	global_load_dwordx4 v[10:13], v74, s[12:13] offset:16
	global_load_dwordx4 v[14:17], v83, s[12:13] offset:16
	s_waitcnt vmcnt(5) lgkmcnt(0)
	v_mul_f64 v[72:73], v[2:3], v[20:21]
	v_mul_f64 v[20:21], v[32:33], v[20:21]
	v_fma_f64 v[32:33], v[32:33], v[18:19], v[72:73]
	v_fma_f64 v[72:73], v[2:3], v[18:19], -v[20:21]
	global_load_dwordx4 v[18:21], v83, s[12:13] offset:32
	s_waitcnt vmcnt(5)
	v_mul_f64 v[2:3], v[4:5], v[24:25]
	v_add_f64 v[32:33], v[68:69], -v[32:33]
	v_fma_f64 v[74:75], v[34:35], v[22:23], v[2:3]
	v_mul_f64 v[2:3], v[34:35], v[24:25]
	s_waitcnt vmcnt(4)
	v_mul_f64 v[34:35], v[8:9], v[42:43]
	v_fma_f64 v[22:23], v[4:5], v[22:23], -v[2:3]
	ds_read2_b64 v[2:5], v30 offset0:160 offset1:192
	s_waitcnt lgkmcnt(0)
	v_mul_f64 v[24:25], v[4:5], v[42:43]
	v_add_f64 v[22:23], v[38:39], -v[22:23]
	v_fma_f64 v[8:9], v[8:9], v[40:41], v[24:25]
	v_fma_f64 v[24:25], v[4:5], v[40:41], -v[34:35]
	s_waitcnt vmcnt(3)
	v_mul_f64 v[4:5], v[2:3], v[46:47]
	v_mul_f64 v[34:35], v[6:7], v[46:47]
	v_add_f64 v[8:9], v[60:61], -v[8:9]
	v_fma_f64 v[40:41], v[6:7], v[44:45], v[4:5]
	ds_read2_b64 v[4:7], v28 offset0:96 offset1:128
	v_fma_f64 v[2:3], v[2:3], v[44:45], -v[34:35]
	s_waitcnt vmcnt(2) lgkmcnt(0)
	v_mul_f64 v[34:35], v[4:5], v[12:13]
	v_mul_f64 v[12:13], v[56:57], v[12:13]
	s_waitcnt vmcnt(1)
	v_mul_f64 v[42:43], v[6:7], v[16:17]
	v_mul_f64 v[16:17], v[58:59], v[16:17]
	v_fma_f64 v[34:35], v[56:57], v[10:11], v[34:35]
	v_fma_f64 v[4:5], v[4:5], v[10:11], -v[12:13]
	ds_read_b64 v[12:13], v30 offset:2816
	v_fma_f64 v[10:11], v[58:59], v[14:15], v[42:43]
	v_fma_f64 v[6:7], v[6:7], v[14:15], -v[16:17]
	v_fma_f64 v[14:15], v[60:61], 2.0, -v[8:9]
	v_fma_f64 v[16:17], v[68:69], 2.0, -v[32:33]
	s_waitcnt vmcnt(0) lgkmcnt(0)
	v_mul_f64 v[56:57], v[12:13], v[20:21]
	v_mul_f64 v[20:21], v[66:67], v[20:21]
	v_add_f64 v[42:43], v[36:37], -v[72:73]
	ds_read_b64 v[44:45], v26
	ds_read_b64 v[46:47], v29
	v_add_f64 v[10:11], v[62:63], -v[10:11]
	ds_read_b64 v[58:59], v31
	s_waitcnt lgkmcnt(0)
	v_add_f64 v[16:17], v[14:15], -v[16:17]
	v_fma_f64 v[56:57], v[66:67], v[18:19], v[56:57]
	v_fma_f64 v[12:13], v[12:13], v[18:19], -v[20:21]
	v_add_f64 v[18:19], v[64:65], -v[34:35]
	v_add_f64 v[20:21], v[70:71], -v[74:75]
	v_mul_lo_u16_e32 v34, 24, v48
	v_add_f64 v[60:61], v[8:9], v[42:43]
	v_or_b32_e32 v48, v34, v76
	v_add_f64 v[24:25], v[46:47], -v[24:25]
	v_add_f64 v[56:57], v[40:41], -v[56:57]
	v_fma_f64 v[14:15], v[14:15], 2.0, -v[16:17]
	v_fma_f64 v[34:35], v[64:65], 2.0, -v[18:19]
	;; [unrolled: 1-line block ×3, first 2 shown]
	v_add_f64 v[66:67], v[18:19], v[22:23]
	v_fma_f64 v[8:9], v[8:9], 2.0, -v[60:61]
	v_fma_f64 v[62:63], v[62:63], 2.0, -v[10:11]
	v_add_f64 v[12:13], v[2:3], -v[12:13]
	v_fma_f64 v[40:41], v[40:41], 2.0, -v[56:57]
	v_and_b32_e32 v48, 0xff, v48
	v_fma_f64 v[36:37], v[36:37], 2.0, -v[42:43]
	v_add_f64 v[64:65], v[34:35], -v[64:65]
	v_fma_f64 v[42:43], v[46:47], 2.0, -v[24:25]
	v_lshl_add_u32 v48, v48, 3, v0
	s_barrier
	ds_write2_b64 v48, v[14:15], v[8:9] offset1:6
	ds_write2_b64 v48, v[16:17], v[60:61] offset0:12 offset1:18
	v_fma_f64 v[14:15], v[18:19], 2.0, -v[66:67]
	v_add_f64 v[16:17], v[62:63], -v[40:41]
	v_fma_f64 v[8:9], v[34:35], 2.0, -v[64:65]
	v_add_f64 v[18:19], v[10:11], v[12:13]
	v_mul_u32_u24_e32 v46, 24, v78
	v_add_f64 v[34:35], v[42:43], -v[36:37]
	v_or_b32_sdwa v36, v46, v79 dst_sel:DWORD dst_unused:UNUSED_PAD src0_sel:DWORD src1_sel:BYTE_0
	v_lshl_add_u32 v60, v36, 3, v0
	v_mul_u32_u24_e32 v36, 24, v81
	ds_write2_b64 v60, v[8:9], v[14:15] offset1:6
	ds_write2_b64 v60, v[64:65], v[66:67] offset0:12 offset1:18
	v_fma_f64 v[8:9], v[62:63], 2.0, -v[16:17]
	v_fma_f64 v[10:11], v[10:11], 2.0, -v[18:19]
	v_or_b32_sdwa v40, v36, v82 dst_sel:DWORD dst_unused:UNUSED_PAD src0_sel:DWORD src1_sel:BYTE_0
	v_add_f64 v[36:37], v[44:45], -v[4:5]
	v_lshl_add_u32 v61, v40, 3, v0
	v_add_f64 v[40:41], v[58:59], -v[6:7]
	ds_write2_b64 v61, v[8:9], v[10:11] offset1:6
	ds_write2_b64 v61, v[16:17], v[18:19] offset0:12 offset1:18
	v_fma_f64 v[4:5], v[38:39], 2.0, -v[22:23]
	v_fma_f64 v[16:17], v[44:45], 2.0, -v[36:37]
	;; [unrolled: 1-line block ×4, first 2 shown]
	v_add_f64 v[32:33], v[24:25], -v[32:33]
	v_fma_f64 v[14:15], v[42:43], 2.0, -v[34:35]
	v_add_f64 v[42:43], v[36:37], -v[20:21]
	v_add_f64 v[46:47], v[40:41], -v[56:57]
	s_waitcnt lgkmcnt(0)
	v_add_f64 v[38:39], v[16:17], -v[4:5]
	s_barrier
	v_add_f64 v[44:45], v[22:23], -v[2:3]
	v_fma_f64 v[24:25], v[24:25], 2.0, -v[32:33]
	v_fma_f64 v[36:37], v[36:37], 2.0, -v[42:43]
	;; [unrolled: 1-line block ×3, first 2 shown]
	ds_read_b64 v[64:65], v29
	ds_read_b64 v[66:67], v31
	;; [unrolled: 1-line block ×3, first 2 shown]
	ds_read_b64 v[70:71], v30 offset:2816
	v_fma_f64 v[16:17], v[16:17], 2.0, -v[38:39]
	ds_read2_b64 v[2:5], v30 offset0:96 offset1:128
	ds_read2_b64 v[6:9], v30 offset0:160 offset1:192
	;; [unrolled: 1-line block ×4, first 2 shown]
	v_fma_f64 v[22:23], v[22:23], 2.0, -v[44:45]
	s_waitcnt lgkmcnt(0)
	s_barrier
	ds_write2_b64 v48, v[14:15], v[24:25] offset1:6
	ds_write2_b64 v48, v[34:35], v[32:33] offset0:12 offset1:18
	ds_write2_b64 v60, v[16:17], v[36:37] offset1:6
	ds_write2_b64 v60, v[38:39], v[42:43] offset0:12 offset1:18
	;; [unrolled: 2-line block ×3, first 2 shown]
	v_subrev_u32_e32 v14, 24, v53
	v_cndmask_b32_e64 v48, v14, v53, s[0:1]
	v_mul_i32_i24_e32 v16, 3, v48
	v_mov_b32_e32 v17, 0
	v_lshlrev_b64 v[14:15], 4, v[16:17]
	v_mov_b32_e32 v16, s13
	v_add_co_u32_e64 v14, s[0:1], s12, v14
	v_lshrrev_b16_e32 v78, 12, v77
	v_addc_co_u32_e64 v15, s[0:1], v16, v15, s[0:1]
	v_mul_lo_u16_e32 v16, 24, v78
	v_sub_u16_e32 v79, v54, v16
	s_waitcnt lgkmcnt(0)
	s_barrier
	global_load_dwordx4 v[22:25], v[14:15], off offset:288
	v_mul_u32_u24_sdwa v16, v79, v1 dst_sel:DWORD dst_unused:UNUSED_PAD src0_sel:BYTE_0 src1_sel:DWORD
	v_lshlrev_b32_e32 v16, 4, v16
	global_load_dwordx4 v[32:35], v16, s[12:13] offset:288
	global_load_dwordx4 v[36:39], v[14:15], off offset:320
	global_load_dwordx4 v[40:43], v16, s[12:13] offset:320
	global_load_dwordx4 v[56:59], v[14:15], off offset:304
	v_mul_lo_u16_e32 v14, 24, v80
	v_sub_u16_e32 v81, v55, v14
	v_mul_u32_u24_sdwa v1, v81, v1 dst_sel:DWORD dst_unused:UNUSED_PAD src0_sel:BYTE_0 src1_sel:DWORD
	v_lshlrev_b32_e32 v76, 4, v1
	ds_read2_b64 v[44:47], v30 offset0:96 offset1:128
	global_load_dwordx4 v[60:63], v76, s[12:13] offset:288
	v_cmp_lt_u32_e64 s[0:1], 23, v53
	s_waitcnt vmcnt(5) lgkmcnt(0)
	v_mul_f64 v[14:15], v[44:45], v[24:25]
	v_mul_f64 v[24:25], v[2:3], v[24:25]
	s_waitcnt vmcnt(4)
	v_mul_f64 v[72:73], v[46:47], v[34:35]
	v_mul_f64 v[34:35], v[4:5], v[34:35]
	v_fma_f64 v[14:15], v[2:3], v[22:23], v[14:15]
	v_fma_f64 v[44:45], v[44:45], v[22:23], -v[24:25]
	global_load_dwordx4 v[22:25], v16, s[12:13] offset:304
	v_fma_f64 v[72:73], v[4:5], v[32:33], v[72:73]
	ds_read2_b64 v[1:4], v27 offset0:32 offset1:64
	v_fma_f64 v[46:47], v[46:47], v[32:33], -v[34:35]
	global_load_dwordx4 v[32:35], v76, s[12:13] offset:304
	s_waitcnt vmcnt(5) lgkmcnt(0)
	v_mul_f64 v[74:75], v[1:2], v[38:39]
	v_mul_f64 v[38:39], v[10:11], v[38:39]
	v_fma_f64 v[10:11], v[10:11], v[36:37], v[74:75]
	v_fma_f64 v[74:75], v[1:2], v[36:37], -v[38:39]
	global_load_dwordx4 v[36:39], v76, s[12:13] offset:320
	s_waitcnt vmcnt(5)
	v_mul_f64 v[1:2], v[3:4], v[42:43]
	v_fma_f64 v[76:77], v[12:13], v[40:41], v[1:2]
	v_mul_f64 v[1:2], v[12:13], v[42:43]
	s_waitcnt vmcnt(4)
	v_mul_f64 v[42:43], v[8:9], v[58:59]
	v_fma_f64 v[12:13], v[3:4], v[40:41], -v[1:2]
	ds_read2_b64 v[1:4], v30 offset0:160 offset1:192
	s_waitcnt lgkmcnt(0)
	v_mul_f64 v[40:41], v[3:4], v[58:59]
	s_waitcnt vmcnt(3)
	v_mul_f64 v[58:59], v[1:2], v[62:63]
	v_fma_f64 v[8:9], v[8:9], v[56:57], v[40:41]
	v_fma_f64 v[40:41], v[3:4], v[56:57], -v[42:43]
	v_mul_f64 v[42:43], v[6:7], v[62:63]
	v_fma_f64 v[56:57], v[6:7], v[60:61], v[58:59]
	ds_read2_b64 v[3:6], v28 offset0:96 offset1:128
	v_add_f64 v[62:63], v[44:45], -v[74:75]
	v_add_f64 v[7:8], v[64:65], -v[8:9]
	;; [unrolled: 1-line block ×3, first 2 shown]
	v_fma_f64 v[1:2], v[1:2], v[60:61], -v[42:43]
	v_mov_b32_e32 v11, 0x60
	v_cndmask_b32_e64 v11, 0, v11, s[0:1]
	v_or_b32_e32 v16, v11, v48
	v_add_f64 v[11:12], v[46:47], -v[12:13]
	v_fma_f64 v[44:45], v[44:45], 2.0, -v[62:63]
	v_fma_f64 v[60:61], v[64:65], 2.0, -v[7:8]
	;; [unrolled: 1-line block ×3, first 2 shown]
	v_lshl_add_u32 v48, v16, 3, v0
	s_movk_i32 s0, 0x180
	s_movk_i32 s1, 0x60
	v_add_f64 v[14:15], v[60:61], -v[14:15]
	s_waitcnt vmcnt(2) lgkmcnt(0)
	v_mul_f64 v[42:43], v[3:4], v[24:25]
	v_mul_f64 v[24:25], v[18:19], v[24:25]
	s_waitcnt vmcnt(1)
	v_mul_f64 v[58:59], v[5:6], v[34:35]
	v_fma_f64 v[18:19], v[18:19], v[22:23], v[42:43]
	v_fma_f64 v[3:4], v[3:4], v[22:23], -v[24:25]
	ds_read_b64 v[22:23], v30 offset:2816
	v_fma_f64 v[24:25], v[20:21], v[32:33], v[58:59]
	v_mul_f64 v[20:21], v[20:21], v[34:35]
	ds_read_b64 v[34:35], v26
	ds_read_b64 v[42:43], v29
	v_add_f64 v[18:19], v[68:69], -v[18:19]
	s_waitcnt vmcnt(0) lgkmcnt(2)
	v_mul_f64 v[58:59], v[22:23], v[38:39]
	v_mul_f64 v[38:39], v[70:71], v[38:39]
	v_add_f64 v[24:25], v[66:67], -v[24:25]
	v_fma_f64 v[5:6], v[5:6], v[32:33], -v[20:21]
	ds_read_b64 v[32:33], v31
	s_waitcnt lgkmcnt(0)
	s_barrier
	v_fma_f64 v[20:21], v[70:71], v[36:37], v[58:59]
	v_fma_f64 v[22:23], v[22:23], v[36:37], -v[38:39]
	v_add_f64 v[38:39], v[72:73], -v[76:77]
	v_add_f64 v[36:37], v[7:8], v[62:63]
	v_fma_f64 v[58:59], v[60:61], 2.0, -v[14:15]
	v_fma_f64 v[60:61], v[68:69], 2.0, -v[18:19]
	v_add_f64 v[68:69], v[56:57], -v[20:21]
	v_add_f64 v[20:21], v[42:43], -v[40:41]
	v_fma_f64 v[64:65], v[72:73], 2.0, -v[38:39]
	v_fma_f64 v[7:8], v[7:8], 2.0, -v[36:37]
	ds_write2_b64 v48, v[58:59], v[7:8] offset1:24
	ds_write2_b64 v48, v[14:15], v[36:37] offset0:48 offset1:72
	v_add_f64 v[40:41], v[60:61], -v[64:65]
	v_fma_f64 v[64:65], v[66:67], 2.0, -v[24:25]
	v_fma_f64 v[56:57], v[56:57], 2.0, -v[68:69]
	v_add_f64 v[66:67], v[18:19], v[11:12]
	v_fma_f64 v[42:43], v[42:43], 2.0, -v[20:21]
	v_add_f64 v[22:23], v[1:2], -v[22:23]
	v_add_f64 v[58:59], v[32:33], -v[5:6]
	v_fma_f64 v[7:8], v[60:61], 2.0, -v[40:41]
	v_add_f64 v[13:14], v[64:65], -v[56:57]
	v_mul_u32_u24_e32 v56, 0x60, v78
	v_fma_f64 v[18:19], v[18:19], 2.0, -v[66:67]
	v_add_f64 v[36:37], v[42:43], -v[44:45]
	v_add_f64 v[44:45], v[20:21], -v[9:10]
	v_or_b32_sdwa v9, v56, v79 dst_sel:DWORD dst_unused:UNUSED_PAD src0_sel:DWORD src1_sel:BYTE_0
	v_add_f64 v[56:57], v[34:35], -v[3:4]
	v_lshl_add_u32 v70, v9, 3, v0
	v_add_f64 v[15:16], v[24:25], v[22:23]
	ds_write2_b64 v70, v[7:8], v[18:19] offset1:24
	ds_write2_b64 v70, v[40:41], v[66:67] offset0:48 offset1:72
	v_mul_u32_u24_e32 v7, 0x60, v80
	v_fma_f64 v[4:5], v[46:47], 2.0, -v[11:12]
	v_or_b32_sdwa v7, v7, v81 dst_sel:DWORD dst_unused:UNUSED_PAD src0_sel:DWORD src1_sel:BYTE_0
	v_fma_f64 v[34:35], v[34:35], 2.0, -v[56:57]
	v_fma_f64 v[9:10], v[64:65], 2.0, -v[13:14]
	v_lshl_add_u32 v64, v7, 3, v0
	v_fma_f64 v[6:7], v[1:2], 2.0, -v[22:23]
	v_fma_f64 v[32:33], v[32:33], 2.0, -v[58:59]
	;; [unrolled: 1-line block ×3, first 2 shown]
	v_add_f64 v[38:39], v[56:57], -v[38:39]
	v_add_f64 v[62:63], v[58:59], -v[68:69]
	;; [unrolled: 1-line block ×3, first 2 shown]
	v_fma_f64 v[40:41], v[42:43], 2.0, -v[36:37]
	v_fma_f64 v[42:43], v[20:21], 2.0, -v[44:45]
	ds_write2_b64 v64, v[13:14], v[15:16] offset0:48 offset1:72
	v_add_f64 v[60:61], v[32:33], -v[6:7]
	ds_write2_b64 v64, v[9:10], v[24:25] offset1:24
	s_waitcnt lgkmcnt(0)
	s_barrier
	ds_read_b64 v[20:21], v29
	ds_read2_b64 v[0:3], v30 offset0:96 offset1:128
	ds_read_b64 v[22:23], v31
	ds_read_b64 v[18:19], v26
	ds_read_b64 v[24:25], v30 offset:2816
	ds_read2_b64 v[12:15], v30 offset0:160 offset1:192
	v_fma_f64 v[34:35], v[34:35], 2.0, -v[46:47]
	v_fma_f64 v[56:57], v[56:57], 2.0, -v[38:39]
	;; [unrolled: 1-line block ×4, first 2 shown]
	ds_read2_b64 v[8:11], v27 offset0:32 offset1:64
	ds_read2_b64 v[4:7], v28 offset0:96 offset1:128
	s_waitcnt lgkmcnt(0)
	s_barrier
	ds_write2_b64 v48, v[40:41], v[42:43] offset1:24
	ds_write2_b64 v48, v[36:37], v[44:45] offset0:48 offset1:72
	ds_write2_b64 v70, v[34:35], v[56:57] offset1:24
	ds_write2_b64 v70, v[46:47], v[38:39] offset0:48 offset1:72
	;; [unrolled: 2-line block ×3, first 2 shown]
	s_waitcnt lgkmcnt(0)
	s_barrier
	s_and_saveexec_b64 s[4:5], vcc
	s_cbranch_execz .LBB0_15
; %bb.14:
	v_mul_i32_i24_e32 v16, 3, v55
	v_lshlrev_b64 v[36:37], 4, v[16:17]
	v_mul_u32_u24_e32 v16, 3, v53
	v_lshlrev_b32_e32 v16, 4, v16
	global_load_dwordx4 v[32:35], v16, s[12:13] offset:1456
	v_mov_b32_e32 v48, s13
	v_add_co_u32_e32 v63, vcc, s12, v36
	v_addc_co_u32_e32 v64, vcc, v48, v37, vcc
	global_load_dwordx4 v[36:39], v[63:64], off offset:1440
	global_load_dwordx4 v[40:43], v[63:64], off offset:1472
	global_load_dwordx4 v[44:47], v16, s[12:13] offset:1440
	global_load_dwordx4 v[55:58], v16, s[12:13] offset:1472
	global_load_dwordx4 v[59:62], v[63:64], off offset:1456
	ds_read2_b64 v[63:66], v30 offset0:160 offset1:192
	ds_read2_b64 v[67:70], v30 offset0:96 offset1:128
	ds_read_b64 v[71:72], v31
	v_mul_i32_i24_e32 v16, 3, v54
	v_lshlrev_b64 v[73:74], 4, v[16:17]
	ds_read_b64 v[30:31], v30 offset:2816
	ds_read_b64 v[81:82], v29
	v_add_co_u32_e32 v73, vcc, s12, v73
	v_addc_co_u32_e32 v74, vcc, v48, v74, vcc
	v_mul_lo_u32 v16, s3, v51
	v_mov_b32_e32 v48, s11
	s_waitcnt vmcnt(5) lgkmcnt(4)
	v_mul_f64 v[75:76], v[65:66], v[34:35]
	v_mul_f64 v[34:35], v[14:15], v[34:35]
	s_waitcnt vmcnt(4)
	v_mul_f64 v[77:78], v[12:13], v[36:37]
	v_mul_f64 v[79:80], v[12:13], v[38:39]
	v_fma_f64 v[75:76], v[14:15], v[32:33], v[75:76]
	v_fma_f64 v[65:66], v[65:66], v[32:33], -v[34:35]
	s_waitcnt vmcnt(3)
	v_mul_f64 v[32:33], v[24:25], v[40:41]
	v_mul_f64 v[24:25], v[24:25], v[42:43]
	v_fma_f64 v[77:78], v[63:64], v[38:39], v[77:78]
	v_fma_f64 v[63:64], v[63:64], v[36:37], -v[79:80]
	s_waitcnt vmcnt(2)
	v_mul_f64 v[37:38], v[0:1], v[44:45]
	v_mul_f64 v[0:1], v[0:1], v[46:47]
	s_waitcnt vmcnt(1)
	v_mul_f64 v[79:80], v[8:9], v[55:56]
	v_mul_f64 v[8:9], v[8:9], v[57:58]
	global_load_dwordx4 v[12:15], v[73:74], off offset:1440
	s_waitcnt lgkmcnt(1)
	v_fma_f64 v[42:43], v[30:31], v[42:43], v[32:33]
	v_fma_f64 v[24:25], v[30:31], v[40:41], -v[24:25]
	ds_read2_b64 v[29:32], v27 offset0:32 offset1:64
	ds_read2_b64 v[33:36], v28 offset0:96 offset1:128
	v_fma_f64 v[27:28], v[67:68], v[46:47], v[37:38]
	v_fma_f64 v[44:45], v[67:68], v[44:45], -v[0:1]
	global_load_dwordx4 v[37:40], v[73:74], off offset:1456
	s_waitcnt lgkmcnt(1)
	v_fma_f64 v[0:1], v[29:30], v[57:58], v[79:80]
	v_fma_f64 v[29:30], v[29:30], v[55:56], -v[8:9]
	s_waitcnt vmcnt(2)
	v_mul_f64 v[8:9], v[6:7], v[61:62]
	s_waitcnt lgkmcnt(0)
	v_mul_f64 v[46:47], v[35:36], v[61:62]
	v_mul_lo_u32 v41, s2, v52
	v_mad_u64_u32 v[51:52], s[2:3], s2, v51, 0
	v_add_f64 v[24:25], v[63:64], -v[24:25]
	s_mov_b32 s2, 0xaaaaaaab
	v_add3_u32 v52, v52, v41, v16
	v_fma_f64 v[35:36], v[35:36], v[59:60], -v[8:9]
	v_fma_f64 v[46:47], v[6:7], v[59:60], v[46:47]
	global_load_dwordx4 v[6:9], v[73:74], off offset:1472
	ds_read_b64 v[58:59], v26
	v_mul_hi_u32 v16, v53, s2
	v_fma_f64 v[62:63], v[63:64], 2.0, -v[24:25]
	s_movk_i32 s3, 0x1000
	v_lshrrev_b32_e32 v16, 6, v16
	v_mul_lo_u32 v16, v16, s1
	v_sub_u32_e32 v16, v53, v16
	v_lshlrev_b32_e32 v16, 4, v16
	s_waitcnt vmcnt(1)
	v_mul_f64 v[54:55], v[4:5], v[39:40]
	v_fma_f64 v[54:55], v[33:34], v[37:38], -v[54:55]
	v_mul_f64 v[33:34], v[33:34], v[39:40]
	v_mul_f64 v[39:40], v[2:3], v[12:13]
	;; [unrolled: 1-line block ×3, first 2 shown]
	s_waitcnt vmcnt(0)
	v_mul_f64 v[56:57], v[10:11], v[6:7]
	v_mul_f64 v[10:11], v[10:11], v[8:9]
	v_fma_f64 v[4:5], v[4:5], v[37:38], v[33:34]
	v_fma_f64 v[14:15], v[69:70], v[14:15], v[39:40]
	v_fma_f64 v[12:13], v[69:70], v[12:13], -v[2:3]
	v_add_f64 v[33:34], v[20:21], -v[75:76]
	v_fma_f64 v[8:9], v[31:32], v[8:9], v[56:57]
	v_fma_f64 v[2:3], v[31:32], v[6:7], -v[10:11]
	v_add_f64 v[31:32], v[81:82], -v[65:66]
	v_add_f64 v[6:7], v[27:28], -v[0:1]
	v_add_f64 v[10:11], v[44:45], -v[29:30]
	v_add_f64 v[29:30], v[71:72], -v[35:36]
	v_add_f64 v[35:36], v[77:78], -v[42:43]
	v_add_f64 v[37:38], v[22:23], -v[46:47]
	s_waitcnt lgkmcnt(0)
	v_add_f64 v[39:40], v[58:59], -v[54:55]
	v_add_f64 v[46:47], v[18:19], -v[4:5]
	v_add_f64 v[54:55], v[12:13], -v[2:3]
	v_add_f64 v[41:42], v[14:15], -v[8:9]
	v_fma_f64 v[56:57], v[81:82], 2.0, -v[31:32]
	v_fma_f64 v[43:44], v[44:45], 2.0, -v[10:11]
	;; [unrolled: 1-line block ×4, first 2 shown]
	v_add_f64 v[2:3], v[31:32], -v[6:7]
	v_add_f64 v[0:1], v[33:34], v[10:11]
	v_add_f64 v[6:7], v[29:30], -v[35:36]
	v_fma_f64 v[67:68], v[22:23], 2.0, -v[37:38]
	v_fma_f64 v[35:36], v[77:78], 2.0, -v[35:36]
	v_add_f64 v[8:9], v[46:47], v[54:55]
	v_add_f64 v[4:5], v[37:38], v[24:25]
	v_add_f64 v[10:11], v[39:40], -v[41:42]
	v_fma_f64 v[69:70], v[18:19], 2.0, -v[46:47]
	v_fma_f64 v[41:42], v[14:15], 2.0, -v[41:42]
	v_add_f64 v[20:21], v[56:57], -v[43:44]
	v_add_f64 v[18:19], v[60:61], -v[26:27]
	v_fma_f64 v[58:59], v[58:59], 2.0, -v[39:40]
	v_fma_f64 v[54:55], v[12:13], 2.0, -v[54:55]
	;; [unrolled: 1-line block ×3, first 2 shown]
	v_add_f64 v[26:27], v[67:68], -v[35:36]
	v_fma_f64 v[34:35], v[46:47], 2.0, -v[8:9]
	v_lshlrev_b64 v[46:47], 4, v[51:52]
	v_fma_f64 v[65:66], v[71:72], 2.0, -v[29:30]
	v_fma_f64 v[14:15], v[31:32], 2.0, -v[2:3]
	;; [unrolled: 1-line block ×4, first 2 shown]
	v_add_f64 v[30:31], v[69:70], -v[41:42]
	v_fma_f64 v[36:37], v[39:40], 2.0, -v[10:11]
	v_fma_f64 v[40:41], v[56:57], 2.0, -v[20:21]
	;; [unrolled: 1-line block ×3, first 2 shown]
	v_add_co_u32_e32 v51, vcc, s10, v46
	v_addc_co_u32_e32 v48, vcc, v48, v47, vcc
	v_lshlrev_b64 v[46:47], 4, v[49:50]
	v_add_f64 v[32:33], v[58:59], -v[54:55]
	v_add_co_u32_e32 v49, vcc, v51, v46
	v_addc_co_u32_e32 v48, vcc, v48, v47, vcc
	v_add_co_u32_e32 v46, vcc, v49, v16
	v_addc_co_u32_e32 v47, vcc, 0, v48, vcc
	v_add_u32_e32 v16, 32, v53
	global_store_dwordx4 v[46:47], v[38:41], off
	global_store_dwordx4 v[46:47], v[12:15], off offset:1536
	global_store_dwordx4 v[46:47], v[18:21], off offset:3072
	v_mul_hi_u32 v38, v16, s2
	v_fma_f64 v[56:57], v[58:59], 2.0, -v[32:33]
	v_fma_f64 v[54:55], v[69:70], 2.0, -v[30:31]
	v_add_f64 v[28:29], v[65:66], -v[62:63]
	v_lshrrev_b32_e32 v12, 6, v38
	v_mul_lo_u32 v15, v12, s1
	v_mul_lo_u32 v14, v12, s0
	v_add_co_u32_e32 v12, vcc, s3, v46
	v_addc_co_u32_e32 v13, vcc, 0, v47, vcc
	global_store_dwordx4 v[12:13], v[0:3], off offset:512
	v_fma_f64 v[44:45], v[65:66], 2.0, -v[28:29]
	v_sub_u32_e32 v0, v16, v15
	v_or_b32_e32 v16, v14, v0
	v_lshlrev_b64 v[0:1], 4, v[16:17]
	v_add_u32_e32 v2, 64, v53
	v_add_co_u32_e32 v0, vcc, v49, v0
	v_addc_co_u32_e32 v1, vcc, v48, v1, vcc
	global_store_dwordx4 v[0:1], v[54:57], off
	v_add_u32_e32 v0, 0x60, v16
	v_mov_b32_e32 v1, v17
	v_lshlrev_b64 v[0:1], 4, v[0:1]
	v_mul_hi_u32 v3, v2, s2
	v_add_co_u32_e32 v0, vcc, v49, v0
	v_addc_co_u32_e32 v1, vcc, v48, v1, vcc
	global_store_dwordx4 v[0:1], v[34:37], off
	v_add_u32_e32 v0, 0xc0, v16
	v_mov_b32_e32 v1, v17
	v_lshlrev_b64 v[0:1], 4, v[0:1]
	v_add_u32_e32 v16, 0x120, v16
	v_add_co_u32_e32 v0, vcc, v49, v0
	v_addc_co_u32_e32 v1, vcc, v48, v1, vcc
	v_lshrrev_b32_e32 v3, 6, v3
	global_store_dwordx4 v[0:1], v[30:33], off
	v_lshlrev_b64 v[0:1], 4, v[16:17]
	v_mul_lo_u32 v12, v3, s0
	v_mul_lo_u32 v3, v3, s1
	v_fma_f64 v[42:43], v[67:68], 2.0, -v[26:27]
	v_add_co_u32_e32 v0, vcc, v49, v0
	v_addc_co_u32_e32 v1, vcc, v48, v1, vcc
	global_store_dwordx4 v[0:1], v[8:11], off
	v_sub_u32_e32 v0, v2, v3
	v_or_b32_e32 v16, v12, v0
	v_lshlrev_b64 v[0:1], 4, v[16:17]
	v_add_co_u32_e32 v0, vcc, v49, v0
	v_addc_co_u32_e32 v1, vcc, v48, v1, vcc
	global_store_dwordx4 v[0:1], v[42:45], off
	v_add_u32_e32 v0, 0x60, v16
	v_mov_b32_e32 v1, v17
	v_lshlrev_b64 v[0:1], 4, v[0:1]
	v_add_co_u32_e32 v0, vcc, v49, v0
	v_addc_co_u32_e32 v1, vcc, v48, v1, vcc
	global_store_dwordx4 v[0:1], v[22:25], off
	v_add_u32_e32 v0, 0xc0, v16
	v_mov_b32_e32 v1, v17
	v_lshlrev_b64 v[0:1], 4, v[0:1]
	v_add_u32_e32 v16, 0x120, v16
	v_add_co_u32_e32 v0, vcc, v49, v0
	v_addc_co_u32_e32 v1, vcc, v48, v1, vcc
	global_store_dwordx4 v[0:1], v[26:29], off
	v_lshlrev_b64 v[0:1], 4, v[16:17]
	v_add_co_u32_e32 v0, vcc, v49, v0
	v_addc_co_u32_e32 v1, vcc, v48, v1, vcc
	global_store_dwordx4 v[0:1], v[4:7], off
.LBB0_15:
	s_endpgm
	.section	.rodata,"a",@progbits
	.p2align	6, 0x0
	.amdhsa_kernel fft_rtc_back_len384_factors_6_4_4_4_wgs_128_tpt_32_halfLds_dp_op_CI_CI_unitstride_sbrr_dirReg
		.amdhsa_group_segment_fixed_size 0
		.amdhsa_private_segment_fixed_size 0
		.amdhsa_kernarg_size 104
		.amdhsa_user_sgpr_count 6
		.amdhsa_user_sgpr_private_segment_buffer 1
		.amdhsa_user_sgpr_dispatch_ptr 0
		.amdhsa_user_sgpr_queue_ptr 0
		.amdhsa_user_sgpr_kernarg_segment_ptr 1
		.amdhsa_user_sgpr_dispatch_id 0
		.amdhsa_user_sgpr_flat_scratch_init 0
		.amdhsa_user_sgpr_private_segment_size 0
		.amdhsa_uses_dynamic_stack 0
		.amdhsa_system_sgpr_private_segment_wavefront_offset 0
		.amdhsa_system_sgpr_workgroup_id_x 1
		.amdhsa_system_sgpr_workgroup_id_y 0
		.amdhsa_system_sgpr_workgroup_id_z 0
		.amdhsa_system_sgpr_workgroup_info 0
		.amdhsa_system_vgpr_workitem_id 0
		.amdhsa_next_free_vgpr 84
		.amdhsa_next_free_sgpr 28
		.amdhsa_reserve_vcc 1
		.amdhsa_reserve_flat_scratch 0
		.amdhsa_float_round_mode_32 0
		.amdhsa_float_round_mode_16_64 0
		.amdhsa_float_denorm_mode_32 3
		.amdhsa_float_denorm_mode_16_64 3
		.amdhsa_dx10_clamp 1
		.amdhsa_ieee_mode 1
		.amdhsa_fp16_overflow 0
		.amdhsa_exception_fp_ieee_invalid_op 0
		.amdhsa_exception_fp_denorm_src 0
		.amdhsa_exception_fp_ieee_div_zero 0
		.amdhsa_exception_fp_ieee_overflow 0
		.amdhsa_exception_fp_ieee_underflow 0
		.amdhsa_exception_fp_ieee_inexact 0
		.amdhsa_exception_int_div_zero 0
	.end_amdhsa_kernel
	.text
.Lfunc_end0:
	.size	fft_rtc_back_len384_factors_6_4_4_4_wgs_128_tpt_32_halfLds_dp_op_CI_CI_unitstride_sbrr_dirReg, .Lfunc_end0-fft_rtc_back_len384_factors_6_4_4_4_wgs_128_tpt_32_halfLds_dp_op_CI_CI_unitstride_sbrr_dirReg
                                        ; -- End function
	.section	.AMDGPU.csdata,"",@progbits
; Kernel info:
; codeLenInByte = 6436
; NumSgprs: 32
; NumVgprs: 84
; ScratchSize: 0
; MemoryBound: 1
; FloatMode: 240
; IeeeMode: 1
; LDSByteSize: 0 bytes/workgroup (compile time only)
; SGPRBlocks: 3
; VGPRBlocks: 20
; NumSGPRsForWavesPerEU: 32
; NumVGPRsForWavesPerEU: 84
; Occupancy: 3
; WaveLimiterHint : 1
; COMPUTE_PGM_RSRC2:SCRATCH_EN: 0
; COMPUTE_PGM_RSRC2:USER_SGPR: 6
; COMPUTE_PGM_RSRC2:TRAP_HANDLER: 0
; COMPUTE_PGM_RSRC2:TGID_X_EN: 1
; COMPUTE_PGM_RSRC2:TGID_Y_EN: 0
; COMPUTE_PGM_RSRC2:TGID_Z_EN: 0
; COMPUTE_PGM_RSRC2:TIDIG_COMP_CNT: 0
	.type	__hip_cuid_c7fbf4541c7724c7,@object ; @__hip_cuid_c7fbf4541c7724c7
	.section	.bss,"aw",@nobits
	.globl	__hip_cuid_c7fbf4541c7724c7
__hip_cuid_c7fbf4541c7724c7:
	.byte	0                               ; 0x0
	.size	__hip_cuid_c7fbf4541c7724c7, 1

	.ident	"AMD clang version 19.0.0git (https://github.com/RadeonOpenCompute/llvm-project roc-6.4.0 25133 c7fe45cf4b819c5991fe208aaa96edf142730f1d)"
	.section	".note.GNU-stack","",@progbits
	.addrsig
	.addrsig_sym __hip_cuid_c7fbf4541c7724c7
	.amdgpu_metadata
---
amdhsa.kernels:
  - .args:
      - .actual_access:  read_only
        .address_space:  global
        .offset:         0
        .size:           8
        .value_kind:     global_buffer
      - .offset:         8
        .size:           8
        .value_kind:     by_value
      - .actual_access:  read_only
        .address_space:  global
        .offset:         16
        .size:           8
        .value_kind:     global_buffer
      - .actual_access:  read_only
        .address_space:  global
        .offset:         24
        .size:           8
        .value_kind:     global_buffer
      - .actual_access:  read_only
        .address_space:  global
        .offset:         32
        .size:           8
        .value_kind:     global_buffer
      - .offset:         40
        .size:           8
        .value_kind:     by_value
      - .actual_access:  read_only
        .address_space:  global
        .offset:         48
        .size:           8
        .value_kind:     global_buffer
      - .actual_access:  read_only
        .address_space:  global
        .offset:         56
        .size:           8
        .value_kind:     global_buffer
      - .offset:         64
        .size:           4
        .value_kind:     by_value
      - .actual_access:  read_only
        .address_space:  global
        .offset:         72
        .size:           8
        .value_kind:     global_buffer
      - .actual_access:  read_only
        .address_space:  global
        .offset:         80
        .size:           8
        .value_kind:     global_buffer
      - .actual_access:  read_only
        .address_space:  global
        .offset:         88
        .size:           8
        .value_kind:     global_buffer
      - .actual_access:  write_only
        .address_space:  global
        .offset:         96
        .size:           8
        .value_kind:     global_buffer
    .group_segment_fixed_size: 0
    .kernarg_segment_align: 8
    .kernarg_segment_size: 104
    .language:       OpenCL C
    .language_version:
      - 2
      - 0
    .max_flat_workgroup_size: 128
    .name:           fft_rtc_back_len384_factors_6_4_4_4_wgs_128_tpt_32_halfLds_dp_op_CI_CI_unitstride_sbrr_dirReg
    .private_segment_fixed_size: 0
    .sgpr_count:     32
    .sgpr_spill_count: 0
    .symbol:         fft_rtc_back_len384_factors_6_4_4_4_wgs_128_tpt_32_halfLds_dp_op_CI_CI_unitstride_sbrr_dirReg.kd
    .uniform_work_group_size: 1
    .uses_dynamic_stack: false
    .vgpr_count:     84
    .vgpr_spill_count: 0
    .wavefront_size: 64
amdhsa.target:   amdgcn-amd-amdhsa--gfx906
amdhsa.version:
  - 1
  - 2
...

	.end_amdgpu_metadata
